;; amdgpu-corpus repo=ROCm/rocFFT kind=compiled arch=gfx950 opt=O3
	.text
	.amdgcn_target "amdgcn-amd-amdhsa--gfx950"
	.amdhsa_code_object_version 6
	.protected	fft_rtc_fwd_len1320_factors_11_2_3_5_4_wgs_165_tpt_165_half_op_CI_CI_unitstride_sbrr_dirReg ; -- Begin function fft_rtc_fwd_len1320_factors_11_2_3_5_4_wgs_165_tpt_165_half_op_CI_CI_unitstride_sbrr_dirReg
	.globl	fft_rtc_fwd_len1320_factors_11_2_3_5_4_wgs_165_tpt_165_half_op_CI_CI_unitstride_sbrr_dirReg
	.p2align	8
	.type	fft_rtc_fwd_len1320_factors_11_2_3_5_4_wgs_165_tpt_165_half_op_CI_CI_unitstride_sbrr_dirReg,@function
fft_rtc_fwd_len1320_factors_11_2_3_5_4_wgs_165_tpt_165_half_op_CI_CI_unitstride_sbrr_dirReg: ; @fft_rtc_fwd_len1320_factors_11_2_3_5_4_wgs_165_tpt_165_half_op_CI_CI_unitstride_sbrr_dirReg
; %bb.0:
	s_load_dwordx4 s[4:7], s[0:1], 0x58
	s_load_dwordx4 s[8:11], s[0:1], 0x0
	;; [unrolled: 1-line block ×3, first 2 shown]
	v_mul_u32_u24_e32 v1, 0x18e, v0
	v_add_u32_sdwa v10, s2, v1 dst_sel:DWORD dst_unused:UNUSED_PAD src0_sel:DWORD src1_sel:WORD_1
	v_mov_b32_e32 v8, 0
	s_waitcnt lgkmcnt(0)
	v_cmp_lt_u64_e64 s[2:3], s[10:11], 2
	v_mov_b32_e32 v11, v8
	s_and_b64 vcc, exec, s[2:3]
	v_mov_b64_e32 v[6:7], 0
	s_cbranch_vccnz .LBB0_8
; %bb.1:
	s_load_dwordx2 s[2:3], s[0:1], 0x10
	s_add_u32 s16, s14, 8
	s_addc_u32 s17, s15, 0
	s_add_u32 s18, s12, 8
	s_addc_u32 s19, s13, 0
	s_waitcnt lgkmcnt(0)
	s_add_u32 s20, s2, 8
	v_mov_b64_e32 v[6:7], 0
	s_addc_u32 s21, s3, 0
	s_mov_b64 s[22:23], 1
	v_mov_b64_e32 v[2:3], v[6:7]
.LBB0_2:                                ; =>This Inner Loop Header: Depth=1
	s_load_dwordx2 s[24:25], s[20:21], 0x0
                                        ; implicit-def: $vgpr4_vgpr5
	s_waitcnt lgkmcnt(0)
	v_or_b32_e32 v9, s25, v11
	v_cmp_ne_u64_e32 vcc, 0, v[8:9]
	s_and_saveexec_b64 s[2:3], vcc
	s_xor_b64 s[26:27], exec, s[2:3]
	s_cbranch_execz .LBB0_4
; %bb.3:                                ;   in Loop: Header=BB0_2 Depth=1
	v_cvt_f32_u32_e32 v1, s24
	v_cvt_f32_u32_e32 v4, s25
	s_sub_u32 s2, 0, s24
	s_subb_u32 s3, 0, s25
	v_fmac_f32_e32 v1, 0x4f800000, v4
	v_rcp_f32_e32 v1, v1
	s_nop 0
	v_mul_f32_e32 v1, 0x5f7ffffc, v1
	v_mul_f32_e32 v4, 0x2f800000, v1
	v_trunc_f32_e32 v4, v4
	v_fmac_f32_e32 v1, 0xcf800000, v4
	v_cvt_u32_f32_e32 v9, v4
	v_cvt_u32_f32_e32 v1, v1
	v_mul_lo_u32 v4, s2, v9
	v_mul_hi_u32 v12, s2, v1
	v_mul_lo_u32 v5, s3, v1
	v_add_u32_e32 v12, v12, v4
	v_mul_lo_u32 v14, s2, v1
	v_add_u32_e32 v15, v12, v5
	v_mul_hi_u32 v4, v1, v14
	v_mul_hi_u32 v13, v1, v15
	v_mul_lo_u32 v12, v1, v15
	v_mov_b32_e32 v5, v8
	v_lshl_add_u64 v[4:5], v[4:5], 0, v[12:13]
	v_mul_hi_u32 v13, v9, v14
	v_mul_lo_u32 v14, v9, v14
	v_add_co_u32_e32 v4, vcc, v4, v14
	v_mul_hi_u32 v12, v9, v15
	s_nop 0
	v_addc_co_u32_e32 v4, vcc, v5, v13, vcc
	v_mov_b32_e32 v5, v8
	s_nop 0
	v_addc_co_u32_e32 v13, vcc, 0, v12, vcc
	v_mul_lo_u32 v12, v9, v15
	v_lshl_add_u64 v[4:5], v[4:5], 0, v[12:13]
	v_add_co_u32_e32 v1, vcc, v1, v4
	v_mul_lo_u32 v12, s2, v1
	s_nop 0
	v_addc_co_u32_e32 v9, vcc, v9, v5, vcc
	v_mul_lo_u32 v4, s2, v9
	v_mul_hi_u32 v5, s2, v1
	v_add_u32_e32 v4, v5, v4
	v_mul_lo_u32 v5, s3, v1
	v_add_u32_e32 v14, v4, v5
	v_mul_hi_u32 v16, v9, v12
	v_mul_lo_u32 v17, v9, v12
	v_mul_hi_u32 v5, v1, v14
	v_mul_lo_u32 v4, v1, v14
	v_mul_hi_u32 v12, v1, v12
	v_mov_b32_e32 v13, v8
	v_lshl_add_u64 v[4:5], v[12:13], 0, v[4:5]
	v_add_co_u32_e32 v4, vcc, v4, v17
	v_mul_hi_u32 v15, v9, v14
	s_nop 0
	v_addc_co_u32_e32 v4, vcc, v5, v16, vcc
	v_mul_lo_u32 v12, v9, v14
	s_nop 0
	v_addc_co_u32_e32 v13, vcc, 0, v15, vcc
	v_mov_b32_e32 v5, v8
	v_lshl_add_u64 v[4:5], v[4:5], 0, v[12:13]
	v_add_co_u32_e32 v1, vcc, v1, v4
	v_mul_hi_u32 v12, v10, v1
	s_nop 0
	v_addc_co_u32_e32 v9, vcc, v9, v5, vcc
	v_mad_u64_u32 v[4:5], s[2:3], v10, v9, 0
	v_mov_b32_e32 v13, v8
	v_lshl_add_u64 v[4:5], v[12:13], 0, v[4:5]
	v_mad_u64_u32 v[14:15], s[2:3], v11, v1, 0
	v_add_co_u32_e32 v1, vcc, v4, v14
	v_mad_u64_u32 v[12:13], s[2:3], v11, v9, 0
	s_nop 0
	v_addc_co_u32_e32 v4, vcc, v5, v15, vcc
	v_mov_b32_e32 v5, v8
	s_nop 0
	v_addc_co_u32_e32 v13, vcc, 0, v13, vcc
	v_lshl_add_u64 v[4:5], v[4:5], 0, v[12:13]
	v_mul_lo_u32 v1, s25, v4
	v_mul_lo_u32 v9, s24, v5
	v_mad_u64_u32 v[12:13], s[2:3], s24, v4, 0
	v_add3_u32 v1, v13, v9, v1
	v_sub_u32_e32 v9, v11, v1
	v_mov_b32_e32 v13, s25
	v_sub_co_u32_e32 v16, vcc, v10, v12
	v_lshl_add_u64 v[14:15], v[4:5], 0, 1
	s_nop 0
	v_subb_co_u32_e64 v9, s[2:3], v9, v13, vcc
	v_subrev_co_u32_e64 v12, s[2:3], s24, v16
	v_subb_co_u32_e32 v1, vcc, v11, v1, vcc
	s_nop 0
	v_subbrev_co_u32_e64 v9, s[2:3], 0, v9, s[2:3]
	v_cmp_le_u32_e64 s[2:3], s25, v9
	v_cmp_le_u32_e32 vcc, s25, v1
	s_nop 0
	v_cndmask_b32_e64 v13, 0, -1, s[2:3]
	v_cmp_le_u32_e64 s[2:3], s24, v12
	s_nop 1
	v_cndmask_b32_e64 v12, 0, -1, s[2:3]
	v_cmp_eq_u32_e64 s[2:3], s25, v9
	s_nop 1
	v_cndmask_b32_e64 v9, v13, v12, s[2:3]
	v_lshl_add_u64 v[12:13], v[4:5], 0, 2
	v_cmp_ne_u32_e64 s[2:3], 0, v9
	s_nop 1
	v_cndmask_b32_e64 v9, v15, v13, s[2:3]
	v_cndmask_b32_e64 v13, 0, -1, vcc
	v_cmp_le_u32_e32 vcc, s24, v16
	s_nop 1
	v_cndmask_b32_e64 v15, 0, -1, vcc
	v_cmp_eq_u32_e32 vcc, s25, v1
	s_nop 1
	v_cndmask_b32_e32 v1, v13, v15, vcc
	v_cmp_ne_u32_e32 vcc, 0, v1
	v_cndmask_b32_e64 v1, v14, v12, s[2:3]
	s_nop 0
	v_cndmask_b32_e32 v5, v5, v9, vcc
	v_cndmask_b32_e32 v4, v4, v1, vcc
.LBB0_4:                                ;   in Loop: Header=BB0_2 Depth=1
	s_andn2_saveexec_b64 s[2:3], s[26:27]
	s_cbranch_execz .LBB0_6
; %bb.5:                                ;   in Loop: Header=BB0_2 Depth=1
	v_cvt_f32_u32_e32 v1, s24
	s_sub_i32 s26, 0, s24
	v_rcp_iflag_f32_e32 v1, v1
	s_nop 0
	v_mul_f32_e32 v1, 0x4f7ffffe, v1
	v_cvt_u32_f32_e32 v1, v1
	v_mul_lo_u32 v4, s26, v1
	v_mul_hi_u32 v4, v1, v4
	v_add_u32_e32 v1, v1, v4
	v_mul_hi_u32 v1, v10, v1
	v_mul_lo_u32 v4, v1, s24
	v_sub_u32_e32 v4, v10, v4
	v_add_u32_e32 v5, 1, v1
	v_subrev_u32_e32 v9, s24, v4
	v_cmp_le_u32_e32 vcc, s24, v4
	s_nop 1
	v_cndmask_b32_e32 v4, v4, v9, vcc
	v_cndmask_b32_e32 v1, v1, v5, vcc
	v_add_u32_e32 v5, 1, v1
	v_cmp_le_u32_e32 vcc, s24, v4
	s_nop 1
	v_cndmask_b32_e32 v4, v1, v5, vcc
	v_mov_b32_e32 v5, v8
.LBB0_6:                                ;   in Loop: Header=BB0_2 Depth=1
	s_or_b64 exec, exec, s[2:3]
	v_mad_u64_u32 v[12:13], s[2:3], v4, s24, 0
	s_load_dwordx2 s[2:3], s[18:19], 0x0
	v_mul_lo_u32 v1, v5, s24
	v_mul_lo_u32 v9, v4, s25
	s_load_dwordx2 s[24:25], s[16:17], 0x0
	s_add_u32 s22, s22, 1
	v_add3_u32 v1, v13, v9, v1
	v_sub_co_u32_e32 v9, vcc, v10, v12
	s_addc_u32 s23, s23, 0
	s_nop 0
	v_subb_co_u32_e32 v1, vcc, v11, v1, vcc
	s_add_u32 s16, s16, 8
	s_waitcnt lgkmcnt(0)
	v_mul_lo_u32 v10, s2, v1
	v_mul_lo_u32 v11, s3, v9
	v_mad_u64_u32 v[6:7], s[2:3], s2, v9, v[6:7]
	s_addc_u32 s17, s17, 0
	v_add3_u32 v7, v11, v7, v10
	v_mul_lo_u32 v1, s24, v1
	v_mul_lo_u32 v10, s25, v9
	v_mad_u64_u32 v[2:3], s[2:3], s24, v9, v[2:3]
	s_add_u32 s18, s18, 8
	v_add3_u32 v3, v10, v3, v1
	s_addc_u32 s19, s19, 0
	v_mov_b64_e32 v[10:11], s[10:11]
	s_add_u32 s20, s20, 8
	v_cmp_ge_u64_e32 vcc, s[22:23], v[10:11]
	s_addc_u32 s21, s21, 0
	s_cbranch_vccnz .LBB0_9
; %bb.7:                                ;   in Loop: Header=BB0_2 Depth=1
	v_mov_b64_e32 v[10:11], v[4:5]
	s_branch .LBB0_2
.LBB0_8:
	v_mov_b64_e32 v[2:3], v[6:7]
	v_mov_b64_e32 v[4:5], v[10:11]
.LBB0_9:
	s_load_dwordx2 s[0:1], s[0:1], 0x28
	s_mov_b32 s2, 0x18d3019
	v_mul_hi_u32 v1, v0, s2
	v_mul_u32_u24_e32 v1, 0xa5, v1
	s_lshl_b64 s[16:17], s[10:11], 3
	v_sub_u32_e32 v0, v0, v1
	s_movk_i32 s2, 0x78
	s_add_u32 s10, s14, s16
	s_waitcnt lgkmcnt(0)
	v_cmp_gt_u64_e64 s[0:1], s[0:1], v[4:5]
	v_cmp_gt_u32_e64 s[2:3], s2, v0
	s_addc_u32 s11, s15, s17
	s_and_b64 s[18:19], s[0:1], s[2:3]
	v_mov_b32_e32 v22, 0
	v_mov_b32_e32 v8, 0
                                        ; implicit-def: $vgpr23
                                        ; implicit-def: $vgpr9
                                        ; implicit-def: $vgpr24
                                        ; implicit-def: $vgpr10
                                        ; implicit-def: $vgpr25
                                        ; implicit-def: $vgpr11
                                        ; implicit-def: $vgpr26
                                        ; implicit-def: $vgpr13
                                        ; implicit-def: $vgpr27
                                        ; implicit-def: $vgpr14
                                        ; implicit-def: $vgpr28
                                        ; implicit-def: $vgpr15
                                        ; implicit-def: $vgpr29
                                        ; implicit-def: $vgpr18
                                        ; implicit-def: $vgpr30
                                        ; implicit-def: $vgpr21
                                        ; implicit-def: $vgpr31
                                        ; implicit-def: $vgpr19
                                        ; implicit-def: $vgpr32
                                        ; implicit-def: $vgpr20
	s_and_saveexec_b64 s[14:15], s[18:19]
	s_cbranch_execz .LBB0_11
; %bb.10:
	s_add_u32 s12, s12, s16
	s_addc_u32 s13, s13, s17
	s_load_dwordx2 s[12:13], s[12:13], 0x0
	v_mov_b32_e32 v1, 0
	s_waitcnt lgkmcnt(0)
	v_mul_lo_u32 v10, s13, v4
	v_mul_lo_u32 v11, s12, v5
	v_mad_u64_u32 v[8:9], s[12:13], s12, v4, 0
	v_add3_u32 v9, v9, v11, v10
	v_lshl_add_u64 v[8:9], v[8:9], 2, s[4:5]
	v_lshl_add_u64 v[6:7], v[6:7], 2, v[8:9]
	v_lshl_add_u64 v[6:7], v[0:1], 2, v[6:7]
	v_add_co_u32_e32 v16, vcc, 0x1000, v6
	global_load_dword v8, v[6:7], off
	global_load_dword v9, v[6:7], off offset:480
	global_load_dword v10, v[6:7], off offset:960
	;; [unrolled: 1-line block ×7, first 2 shown]
	v_addc_co_u32_e32 v17, vcc, 0, v7, vcc
	global_load_dword v20, v[6:7], off offset:3840
	global_load_dword v19, v[16:17], off offset:224
	;; [unrolled: 1-line block ×3, first 2 shown]
	s_waitcnt vmcnt(10)
	v_lshrrev_b32_e32 v22, 16, v8
	s_waitcnt vmcnt(9)
	v_lshrrev_b32_e32 v23, 16, v9
	;; [unrolled: 2-line block ×11, first 2 shown]
.LBB0_11:
	s_or_b64 exec, exec, s[14:15]
	v_add_f16_e32 v34, v9, v21
	v_sub_f16_e32 v37, v9, v21
	v_sub_f16_e32 v6, v23, v30
	v_mul_f16_e32 v41, 0x36a6, v34
	s_mov_b32 s12, 0xbb47
	v_add_f16_e32 v38, v10, v19
	v_add_f16_e32 v7, v23, v30
	s_movk_i32 s14, 0x36a6
	v_mul_f16_e32 v46, 0xbb47, v37
	v_fma_f16 v1, v6, s12, v41
	v_sub_f16_e32 v42, v10, v19
	v_sub_f16_e32 v33, v24, v31
	v_mul_f16_e32 v47, 0xb93d, v38
	s_mov_b32 s16, 0xba0c
	v_add_f16_e32 v1, v8, v1
	v_fma_f16 v12, v7, s14, -v46
	v_mul_f16_e32 v55, 0xb08e, v34
	s_mov_b32 s13, 0xbbeb
	v_add_f16_e32 v35, v24, v31
	s_mov_b32 s17, 0xb93d
	v_mul_f16_e32 v51, 0xba0c, v42
	v_fma_f16 v36, v33, s16, v47
	v_add_f16_e32 v12, v22, v12
	s_mov_b32 s15, 0xb08e
	v_mul_f16_e32 v61, 0xbbeb, v37
	v_fma_f16 v16, v6, s13, v55
	v_add_f16_e32 v1, v1, v36
	v_fma_f16 v36, v35, s17, -v51
	v_mul_f16_e32 v58, 0xbbad, v38
	s_movk_i32 s19, 0x3482
	v_add_f16_e32 v16, v8, v16
	v_fma_f16 v17, v7, s15, -v61
	v_add_f16_e32 v12, v12, v36
	s_mov_b32 s18, 0xbbad
	v_mul_f16_e32 v64, 0x3482, v42
	v_fma_f16 v36, v33, s19, v58
	v_add_f16_e32 v17, v22, v17
	v_add_f16_e32 v16, v16, v36
	v_fma_f16 v36, v35, s18, -v64
	v_add_f16_e32 v43, v11, v20
	v_add_f16_e32 v17, v17, v36
	v_sub_f16_e32 v49, v11, v20
	v_sub_f16_e32 v36, v25, v32
	v_mul_f16_e32 v53, 0xbbad, v43
	v_add_f16_e32 v39, v25, v32
	v_mul_f16_e32 v56, 0x3482, v49
	v_fma_f16 v40, v36, s19, v53
	v_add_f16_e32 v1, v1, v40
	v_fma_f16 v40, v39, s18, -v56
	v_mul_f16_e32 v63, 0x36a6, v43
	s_movk_i32 s21, 0x3b47
	v_add_f16_e32 v12, v12, v40
	v_mul_f16_e32 v67, 0x3b47, v49
	v_fma_f16 v40, v36, s21, v63
	v_add_f16_e32 v16, v16, v40
	v_fma_f16 v40, v39, s14, -v67
	v_add_f16_e32 v48, v13, v18
	v_add_f16_e32 v17, v17, v40
	v_sub_f16_e32 v54, v13, v18
	v_sub_f16_e32 v40, v26, v29
	v_mul_f16_e32 v57, 0xb08e, v48
	s_movk_i32 s23, 0x3beb
	v_add_f16_e32 v44, v26, v29
	v_mul_f16_e32 v60, 0x3beb, v54
	v_fma_f16 v45, v40, s23, v57
	v_add_f16_e32 v1, v45, v1
	v_fma_f16 v45, v44, s15, -v60
	v_mul_f16_e32 v66, 0x3abb, v48
	s_mov_b32 s20, 0xb853
	v_add_f16_e32 v12, v45, v12
	s_movk_i32 s22, 0x3abb
	v_mul_f16_e32 v69, 0xb853, v54
	v_fma_f16 v45, v40, s20, v66
	v_add_f16_e32 v16, v45, v16
	v_fma_f16 v45, v44, s22, -v69
	v_add_f16_e32 v52, v14, v15
	v_add_f16_e32 v17, v45, v17
	v_sub_f16_e32 v45, v27, v28
	s_movk_i32 s24, 0x3853
	v_mul_f16_e32 v62, 0x3abb, v52
	v_fma_f16 v50, v45, s24, v62
	v_sub_f16_e32 v59, v14, v15
	v_add_f16_e32 v1, v50, v1
	v_add_f16_e32 v50, v27, v28
	v_mul_f16_e32 v65, 0x3853, v59
	v_fma_f16 v68, v50, s22, -v65
	v_add_f16_e32 v12, v68, v12
	v_mul_f16_e32 v68, 0xb93d, v52
	v_fma_f16 v70, v45, s16, v68
	v_add_f16_e32 v16, v70, v16
	v_mul_f16_e32 v70, 0xba0c, v59
	v_fma_f16 v71, v50, s17, -v70
	v_add_f16_e32 v17, v71, v17
	s_and_saveexec_b64 s[4:5], s[2:3]
	s_cbranch_execz .LBB0_13
; %bb.12:
	v_mul_f16_e32 v71, 0xba0c, v37
	v_fma_f16 v72, v7, s17, -v71
	v_mul_f16_e32 v73, 0x3beb, v42
	v_add_f16_e32 v72, v22, v72
	v_fma_f16 v74, v35, s15, -v73
	v_add_f16_e32 v72, v72, v74
	v_mul_f16_e32 v74, 0xb853, v49
	v_fma_f16 v75, v39, s22, -v74
	v_add_f16_e32 v72, v72, v75
	v_mul_f16_e32 v75, 0xb482, v54
	;; [unrolled: 3-line block ×3, first 2 shown]
	v_fma_f16 v77, v50, s14, -v76
	v_fma_f16 v71, v7, s17, v71
	v_add_f16_e32 v72, v77, v72
	v_mul_f16_e32 v77, 0xba0c, v6
	v_add_f16_e32 v71, v22, v71
	v_fma_f16 v73, v35, s15, v73
	v_fma_f16 v78, v34, s17, v77
	v_mul_f16_e32 v79, 0x3beb, v33
	v_add_f16_e32 v71, v71, v73
	v_fma_f16 v73, v39, s22, v74
	v_add_f16_e32 v78, v8, v78
	v_fma_f16 v80, v38, s15, v79
	;; [unrolled: 2-line block ×3, first 2 shown]
	v_add_f16_e32 v78, v78, v80
	v_mul_f16_e32 v80, 0xb853, v36
	v_add_f16_e32 v71, v73, v71
	v_fma_f16 v73, v50, s14, v76
	v_fma_f16 v81, v43, s22, v80
	v_add_f16_e32 v71, v73, v71
	v_fma_f16 v73, v34, s17, -v77
	v_add_f16_e32 v78, v78, v81
	v_mul_f16_e32 v81, 0xb482, v40
	v_add_f16_e32 v73, v8, v73
	v_fma_f16 v74, v38, s15, -v79
	v_fma_f16 v82, v48, s18, v81
	v_add_f16_e32 v73, v73, v74
	v_fma_f16 v74, v43, s22, -v80
	v_add_f16_e32 v78, v82, v78
	v_mul_f16_e32 v82, 0x3b47, v45
	v_add_f16_e32 v73, v73, v74
	v_fma_f16 v74, v48, s18, -v81
	v_add_f16_e32 v73, v74, v73
	v_fma_f16 v74, v52, s14, -v82
	v_add_f16_e32 v73, v74, v73
	v_mul_f16_e32 v74, 0xb08e, v7
	v_add_f16_e32 v61, v74, v61
	v_mul_f16_e32 v74, 0xbbad, v35
	v_add_f16_e32 v64, v74, v64
	v_add_f16_e32 v61, v22, v61
	;; [unrolled: 1-line block ×3, first 2 shown]
	v_mul_f16_e32 v64, 0x36a6, v39
	v_add_f16_e32 v64, v64, v67
	v_add_f16_e32 v61, v61, v64
	v_mul_f16_e32 v64, 0x3abb, v44
	v_add_f16_e32 v64, v64, v69
	v_add_f16_e32 v61, v64, v61
	v_mul_f16_e32 v64, 0xb93d, v50
	v_add_f16_e32 v64, v64, v70
	v_mul_f16_e32 v70, 0xbbeb, v6
	v_sub_f16_e32 v55, v55, v70
	v_mul_f16_e32 v70, 0x3482, v33
	v_sub_f16_e32 v58, v58, v70
	v_add_f16_e32 v55, v8, v55
	v_add_f16_e32 v55, v55, v58
	v_mul_f16_e32 v58, 0x3b47, v36
	v_sub_f16_e32 v58, v63, v58
	v_mul_f16_e32 v67, 0xbb47, v6
	v_add_f16_e32 v55, v55, v58
	v_mul_f16_e32 v58, 0xb853, v40
	v_fma_f16 v83, v52, s14, v82
	v_mul_f16_e32 v69, 0x36a6, v7
	v_add_f16_e32 v61, v64, v61
	v_mul_f16_e32 v64, 0xba0c, v33
	v_sub_f16_e32 v58, v66, v58
	v_sub_f16_e32 v41, v41, v67
	v_add_f16_e32 v78, v83, v78
	v_mul_f16_e32 v83, 0xb482, v37
	v_mul_f16_e32 v70, 0xb93d, v35
	;; [unrolled: 1-line block ×3, first 2 shown]
	v_add_f16_e32 v55, v58, v55
	v_mul_f16_e32 v58, 0xba0c, v45
	v_add_f16_e32 v46, v69, v46
	v_add_f16_e32 v41, v8, v41
	v_sub_f16_e32 v47, v47, v64
	v_fma_f16 v84, v7, s18, -v83
	v_mul_f16_e32 v85, 0x3853, v42
	v_mul_f16_e32 v66, 0xbbad, v39
	v_sub_f16_e32 v58, v68, v58
	v_mul_f16_e32 v68, 0x3beb, v40
	v_add_f16_e32 v51, v70, v51
	v_add_f16_e32 v46, v22, v46
	;; [unrolled: 1-line block ×3, first 2 shown]
	v_sub_f16_e32 v47, v53, v63
	v_add_f16_e32 v84, v22, v84
	v_fma_f16 v86, v35, s22, -v85
	v_add_f16_e32 v55, v58, v55
	v_mul_f16_e32 v58, 0xb08e, v44
	v_mul_f16_e32 v69, 0x3853, v45
	v_add_f16_e32 v46, v46, v51
	v_add_f16_e32 v51, v66, v56
	;; [unrolled: 1-line block ×3, first 2 shown]
	v_sub_f16_e32 v47, v57, v68
	v_add_f16_e32 v84, v84, v86
	v_mul_f16_e32 v86, 0xba0c, v49
	v_mul_f16_e32 v70, 0x3abb, v50
	v_add_f16_e32 v46, v46, v51
	v_add_f16_e32 v51, v58, v60
	;; [unrolled: 1-line block ×3, first 2 shown]
	v_sub_f16_e32 v47, v62, v69
	v_mul_f16_e32 v37, 0xb853, v37
	v_fma_f16 v87, v39, s17, -v86
	v_add_f16_e32 v46, v51, v46
	v_add_f16_e32 v51, v70, v65
	;; [unrolled: 1-line block ×3, first 2 shown]
	v_fma_f16 v47, v7, s22, v37
	v_mul_f16_e32 v42, 0xbb47, v42
	v_add_f16_e32 v84, v84, v87
	v_mul_f16_e32 v87, 0x3b47, v54
	v_fma_f16 v83, v7, s18, v83
	v_add_f16_e32 v46, v51, v46
	v_add_f16_e32 v47, v22, v47
	v_fma_f16 v51, v35, s14, v42
	v_mul_f16_e32 v49, 0xbbeb, v49
	v_fma_f16 v88, v44, s14, -v87
	v_add_f16_e32 v83, v22, v83
	v_fma_f16 v85, v35, s22, v85
	v_add_f16_e32 v47, v47, v51
	v_fma_f16 v51, v39, s15, v49
	v_add_f16_e32 v84, v88, v84
	v_mul_f16_e32 v88, 0xbbeb, v59
	v_add_f16_e32 v83, v83, v85
	v_fma_f16 v85, v39, s17, v86
	v_add_f16_e32 v47, v47, v51
	v_mul_f16_e32 v51, 0xba0c, v54
	v_fma_f16 v89, v50, s15, -v88
	v_add_f16_e32 v83, v83, v85
	v_fma_f16 v85, v44, s14, v87
	v_fma_f16 v53, v44, s17, v51
	v_add_f16_e32 v84, v89, v84
	v_mul_f16_e32 v89, 0xb482, v6
	v_add_f16_e32 v83, v85, v83
	v_fma_f16 v85, v50, s15, v88
	v_add_f16_e32 v47, v53, v47
	v_mul_f16_e32 v53, 0xb482, v59
	v_fma_f16 v90, v34, s18, v89
	v_add_f16_e32 v83, v85, v83
	v_fma_f16 v85, v34, s18, -v89
	v_fma_f16 v54, v50, s18, v53
	v_mul_f16_e32 v34, 0x3abb, v34
	v_add_f16_e32 v47, v54, v47
	v_fma_f16 v54, v6, s24, v34
	v_fma_f16 v7, v7, s22, -v37
	v_fma_f16 v6, v6, s20, v34
	v_add_f16_e32 v90, v8, v90
	v_add_f16_e32 v85, v8, v85
	;; [unrolled: 1-line block ×7, first 2 shown]
	v_mul_f16_e32 v91, 0x3853, v33
	v_add_f16_e32 v22, v22, v24
	v_add_f16_e32 v8, v8, v10
	v_fma_f16 v92, v38, s22, v91
	v_add_f16_e32 v22, v22, v25
	v_add_f16_e32 v8, v8, v11
	;; [unrolled: 1-line block ×3, first 2 shown]
	v_mul_f16_e32 v92, 0xba0c, v36
	v_add_f16_e32 v22, v22, v26
	v_add_f16_e32 v8, v8, v13
	v_fma_f16 v93, v43, s17, v92
	v_add_f16_e32 v22, v22, v27
	v_add_f16_e32 v8, v8, v14
	;; [unrolled: 1-line block ×3, first 2 shown]
	v_mul_f16_e32 v93, 0x3b47, v40
	v_fma_f16 v86, v38, s22, -v91
	v_mul_f16_e32 v38, 0x36a6, v38
	v_add_f16_e32 v22, v22, v28
	v_add_f16_e32 v8, v8, v15
	v_fma_f16 v94, v48, s14, v93
	v_add_f16_e32 v85, v85, v86
	v_fma_f16 v86, v43, s17, -v92
	v_fma_f16 v56, v33, s21, v38
	v_mul_f16_e32 v43, 0xb08e, v43
	v_add_f16_e32 v22, v22, v29
	v_add_f16_e32 v8, v8, v18
	;; [unrolled: 1-line block ×3, first 2 shown]
	v_mul_f16_e32 v94, 0xbbeb, v45
	v_add_f16_e32 v85, v85, v86
	v_fma_f16 v86, v48, s14, -v93
	v_add_f16_e32 v54, v54, v56
	v_fma_f16 v56, v36, s23, v43
	v_mul_f16_e32 v48, 0xb93d, v48
	s_movk_i32 s3, 0x3a0c
	v_add_f16_e32 v22, v22, v32
	v_add_f16_e32 v8, v8, v20
	v_fma_f16 v95, v52, s15, v94
	v_add_f16_e32 v85, v86, v85
	v_fma_f16 v86, v52, s15, -v94
	v_add_f16_e32 v54, v54, v56
	v_fma_f16 v56, v40, s3, v48
	v_mul_f16_e32 v52, 0xbbad, v52
	v_add_f16_e32 v22, v31, v22
	v_add_f16_e32 v8, v19, v8
	;; [unrolled: 1-line block ×3, first 2 shown]
	v_fma_f16 v56, v45, s19, v52
	v_fma_f16 v35, v35, s14, -v42
	v_fma_f16 v33, v33, s12, v38
	v_add_f16_sdwa v22, v30, v22 dst_sel:WORD_1 dst_unused:UNUSED_PAD src0_sel:DWORD src1_sel:DWORD
	v_add_f16_e32 v8, v21, v8
	v_add_f16_e32 v54, v56, v54
	;; [unrolled: 1-line block ×3, first 2 shown]
	v_fma_f16 v35, v39, s15, -v49
	v_add_f16_e32 v6, v6, v33
	v_fma_f16 v33, v36, s13, v43
	v_or_b32_e32 v8, v22, v8
	v_mad_u32_u24 v9, v0, 44, 0
	s_mov_b32 s2, 0xb482
	v_add_f16_e32 v7, v7, v35
	v_fma_f16 v35, v44, s17, -v51
	v_add_f16_e32 v6, v6, v33
	v_fma_f16 v33, v40, s16, v48
	ds_write_b32 v9, v8
	v_pack_b32_f16 v8, v41, v46
	v_pack_b32_f16 v10, v54, v47
	v_add_f16_e32 v90, v95, v90
	v_add_f16_e32 v85, v86, v85
	v_add_f16_e32 v7, v35, v7
	v_fma_f16 v35, v50, s18, -v53
	v_add_f16_e32 v6, v33, v6
	v_fma_f16 v33, v45, s2, v52
	ds_write2_b32 v9, v10, v8 offset0:1 offset1:2
	v_pack_b32_f16 v8, v55, v61
	v_pack_b32_f16 v10, v73, v71
	v_add_f16_e32 v7, v35, v7
	v_add_f16_e32 v6, v33, v6
	ds_write2_b32 v9, v8, v10 offset0:3 offset1:4
	v_pack_b32_f16 v8, v90, v84
	v_pack_b32_f16 v10, v85, v83
	s_mov_b32 s2, 0x5040100
	ds_write2_b32 v9, v10, v8 offset0:5 offset1:6
	v_pack_b32_f16 v8, v78, v72
	v_perm_b32 v10, v17, v16, s2
	v_pack_b32_f16 v6, v6, v7
	v_perm_b32 v7, v12, v1, s2
	ds_write2_b32 v9, v8, v10 offset0:7 offset1:8
	ds_write2_b32 v9, v7, v6 offset0:9 offset1:10
.LBB0_13:
	s_or_b64 exec, exec, s[4:5]
	v_add_u32_e32 v13, 0xa5, v0
	s_mov_b32 s4, 0xba2f
	v_mul_u32_u24_sdwa v21, v13, s4 dst_sel:DWORD dst_unused:UNUSED_PAD src0_sel:WORD_0 src1_sel:DWORD
	v_add_u32_e32 v19, 0x14a, v0
	v_lshrrev_b32_e32 v20, 19, v21
	v_add_u32_e32 v8, 0x1ef, v0
	v_mul_lo_u16_e32 v6, 11, v20
	v_mul_u32_u24_sdwa v22, v19, s4 dst_sel:DWORD dst_unused:UNUSED_PAD src0_sel:WORD_0 src1_sel:DWORD
	v_sub_u16_e32 v6, v13, v6
	v_lshrrev_b32_e32 v24, 19, v22
	v_mul_u32_u24_sdwa v7, v8, s4 dst_sel:DWORD dst_unused:UNUSED_PAD src0_sel:WORD_0 src1_sel:DWORD
	v_lshlrev_b32_e32 v23, 2, v6
	v_mul_lo_u16_e32 v6, 11, v24
	v_lshrrev_b32_e32 v25, 19, v7
	v_sub_u16_e32 v6, v19, v6
	v_mul_lo_u16_e32 v7, 11, v25
	s_movk_i32 s4, 0x75
	v_sub_u16_e32 v7, v8, v7
	v_lshlrev_b32_e32 v27, 2, v6
	v_mul_lo_u16_sdwa v6, v0, s4 dst_sel:DWORD dst_unused:UNUSED_PAD src0_sel:BYTE_0 src1_sel:DWORD
	v_lshlrev_b32_e32 v26, 2, v7
	v_sub_u16_sdwa v7, v0, v6 dst_sel:DWORD dst_unused:UNUSED_PAD src0_sel:DWORD src1_sel:BYTE_1
	v_lshrrev_b16_e32 v7, 1, v7
	v_and_b32_e32 v7, 0x7f, v7
	v_add_u16_sdwa v6, v7, v6 dst_sel:DWORD dst_unused:UNUSED_PAD src0_sel:DWORD src1_sel:BYTE_1
	v_lshrrev_b16_e32 v31, 3, v6
	v_mul_lo_u16_e32 v6, 11, v31
	s_load_dwordx2 s[2:3], s[10:11], 0x0
	s_waitcnt lgkmcnt(0)
	s_barrier
	global_load_dword v28, v23, s[8:9]
	global_load_dword v29, v26, s[8:9]
	;; [unrolled: 1-line block ×3, first 2 shown]
	v_sub_u16_e32 v6, v0, v6
	v_mov_b32_e32 v18, 2
	v_lshlrev_b32_sdwa v32, v18, v6 dst_sel:DWORD dst_unused:UNUSED_PAD src0_sel:DWORD src1_sel:BYTE_0
	global_load_dword v33, v32, s[8:9]
	v_lshl_add_u32 v15, v0, 2, 0
	s_mov_b32 s10, 0x5040100
	v_add_u32_e32 v9, 0xa00, v15
	v_add_u32_e32 v10, 0xf00, v15
	v_lshl_add_u32 v34, v8, 2, 0
	s_movk_i32 s5, 0x58
	ds_read2_b32 v[6:7], v15 offset1:165
	v_lshl_add_u32 v14, v19, 2, 0
	ds_read2_b32 v[8:9], v9 offset0:20 offset1:185
	ds_read2_b32 v[10:11], v10 offset0:30 offset1:195
	ds_read_b32 v35, v14
	ds_read_b32 v34, v34
	v_perm_b32 v24, v25, v24, s10
	v_mul_u32_u24_e32 v20, 0x58, v20
	v_pk_mul_lo_u16 v24, v24, s5 op_sel_hi:[1,0]
	v_add3_u32 v23, 0, v20, v23
	v_and_b32_e32 v25, 0xfff8, v24
	v_lshrrev_b32_e32 v24, 16, v24
	v_mul_u32_u24_e32 v20, 0x58, v31
	v_add3_u32 v25, 0, v25, v27
	v_add3_u32 v24, 0, v24, v26
	;; [unrolled: 1-line block ×3, first 2 shown]
	s_mov_b32 s4, 0xffff
	s_waitcnt lgkmcnt(0)
	s_barrier
	s_waitcnt vmcnt(3)
	v_pk_mul_f16 v20, v28, v9 op_sel:[0,1]
	s_waitcnt vmcnt(2)
	v_pk_mul_f16 v27, v29, v11 op_sel:[0,1]
	;; [unrolled: 2-line block ×3, first 2 shown]
	v_pk_fma_f16 v32, v28, v9, v20 op_sel:[0,0,1] op_sel_hi:[1,1,0] neg_lo:[0,0,1] neg_hi:[0,0,1]
	v_pk_fma_f16 v9, v28, v9, v20 op_sel:[0,0,1] op_sel_hi:[1,0,0]
	v_pk_fma_f16 v20, v29, v11, v27 op_sel:[0,0,1] op_sel_hi:[1,0,0]
	v_pk_fma_f16 v11, v29, v11, v27 op_sel:[0,0,1] op_sel_hi:[1,0,0] neg_lo:[0,0,1] neg_hi:[0,0,1]
	v_pk_fma_f16 v27, v30, v10, v31 op_sel:[0,0,1] op_sel_hi:[1,1,0] neg_lo:[0,0,1] neg_hi:[0,0,1]
	v_pk_fma_f16 v10, v30, v10, v31 op_sel:[0,0,1] op_sel_hi:[1,0,0]
	v_bfi_b32 v11, s4, v11, v20
	v_bfi_b32 v10, s4, v27, v10
	v_pk_add_f16 v27, v34, v11 neg_lo:[0,1] neg_hi:[0,1]
	s_waitcnt vmcnt(0)
	v_pk_mul_f16 v11, v33, v8 op_sel:[0,1]
	v_bfi_b32 v9, s4, v32, v9
	v_pk_fma_f16 v29, v33, v8, v11 op_sel:[0,0,1] op_sel_hi:[1,1,0] neg_lo:[0,0,1] neg_hi:[0,0,1]
	v_pk_fma_f16 v8, v33, v8, v11 op_sel:[0,0,1] op_sel_hi:[1,0,0]
	v_pk_add_f16 v9, v7, v9 neg_lo:[0,1] neg_hi:[0,1]
	v_bfi_b32 v8, s4, v29, v8
	v_pk_add_f16 v8, v6, v8 neg_lo:[0,1] neg_hi:[0,1]
	v_pk_add_f16 v10, v35, v10 neg_lo:[0,1] neg_hi:[0,1]
	v_pk_fma_f16 v6, v6, 2.0, v8 op_sel_hi:[1,0,1] neg_lo:[0,0,1] neg_hi:[0,0,1]
	v_pk_fma_f16 v7, v7, 2.0, v9 op_sel_hi:[1,0,1] neg_lo:[0,0,1] neg_hi:[0,0,1]
	;; [unrolled: 1-line block ×4, first 2 shown]
	ds_write2_b32 v26, v6, v8 offset1:11
	ds_write2_b32 v23, v7, v9 offset1:11
	;; [unrolled: 1-line block ×4, first 2 shown]
	v_add_u32_e32 v8, 0x600, v15
	v_add_u32_e32 v10, 0xd00, v15
	s_waitcnt lgkmcnt(0)
	s_barrier
	ds_read2_b32 v[6:7], v15 offset1:165
	ds_read2_b32 v[8:9], v8 offset0:56 offset1:221
	ds_read2_b32 v[10:11], v10 offset0:48 offset1:213
	s_movk_i32 s4, 0x6e
	v_alignbit_b32 v23, v27, v27, 16
	v_cmp_gt_u32_e32 vcc, s4, v0
	s_and_saveexec_b64 s[4:5], vcc
	s_cbranch_execz .LBB0_15
; %bb.14:
	ds_read_b32 v17, v15 offset:3080
	ds_read_b32 v16, v15 offset:4840
	ds_read_b32 v20, v14
	s_waitcnt lgkmcnt(2)
	v_alignbit_b32 v23, v17, v17, 16
	s_waitcnt lgkmcnt(1)
	v_lshrrev_b32_e32 v17, 16, v16
.LBB0_15:
	s_or_b64 exec, exec, s[4:5]
	v_lshrrev_b16_e32 v24, 1, v0
	v_and_b32_e32 v24, 0x7f, v24
	v_lshrrev_b32_e32 v32, 20, v21
	v_mul_lo_u16_e32 v24, 0xbb, v24
	v_mul_lo_u16_e32 v21, 22, v32
	v_lshrrev_b16_e32 v30, 11, v24
	v_sub_u16_e32 v33, v13, v21
	v_lshrrev_b32_e32 v21, 20, v22
	v_mul_lo_u16_e32 v24, 22, v30
	v_mul_lo_u16_e32 v22, 22, v21
	v_sub_u16_e32 v31, v0, v24
	v_mov_b32_e32 v24, 3
	v_sub_u16_e32 v19, v19, v22
	v_lshlrev_b32_sdwa v24, v24, v31 dst_sel:DWORD dst_unused:UNUSED_PAD src0_sel:DWORD src1_sel:BYTE_0
	v_lshlrev_b32_e32 v26, 3, v33
	v_lshlrev_b32_e32 v22, 3, v19
	global_load_dwordx2 v[24:25], v24, s[8:9] offset:44
	s_waitcnt lgkmcnt(1)
	v_lshrrev_b32_e32 v34, 16, v8
	global_load_dwordx2 v[26:27], v26, s[8:9] offset:44
	s_waitcnt lgkmcnt(0)
	v_lshrrev_b32_e32 v35, 16, v10
	global_load_dwordx2 v[28:29], v22, s[8:9] offset:44
	v_lshrrev_b32_e32 v36, 16, v9
	v_lshrrev_b32_e32 v37, 16, v11
	;; [unrolled: 1-line block ×6, first 2 shown]
	s_movk_i32 s4, 0x3aee
	s_mov_b32 s5, 0xbaee
	v_lshlrev_b32_sdwa v18, v18, v31 dst_sel:DWORD dst_unused:UNUSED_PAD src0_sel:DWORD src1_sel:BYTE_0
	s_barrier
	s_waitcnt vmcnt(2)
	v_mul_f16_sdwa v41, v24, v34 dst_sel:DWORD dst_unused:UNUSED_PAD src0_sel:WORD_1 src1_sel:DWORD
	v_mul_f16_sdwa v42, v24, v8 dst_sel:DWORD dst_unused:UNUSED_PAD src0_sel:WORD_1 src1_sel:DWORD
	;; [unrolled: 1-line block ×3, first 2 shown]
	s_waitcnt vmcnt(1)
	v_mul_f16_sdwa v45, v26, v36 dst_sel:DWORD dst_unused:UNUSED_PAD src0_sel:WORD_1 src1_sel:DWORD
	v_mul_f16_sdwa v46, v26, v9 dst_sel:DWORD dst_unused:UNUSED_PAD src0_sel:WORD_1 src1_sel:DWORD
	;; [unrolled: 1-line block ×4, first 2 shown]
	s_waitcnt vmcnt(0)
	v_mul_f16_sdwa v49, v23, v28 dst_sel:DWORD dst_unused:UNUSED_PAD src0_sel:DWORD src1_sel:WORD_1
	v_mul_f16_sdwa v51, v17, v29 dst_sel:DWORD dst_unused:UNUSED_PAD src0_sel:DWORD src1_sel:WORD_1
	v_mul_f16_sdwa v44, v25, v10 dst_sel:DWORD dst_unused:UNUSED_PAD src0_sel:WORD_1 src1_sel:DWORD
	v_mul_f16_sdwa v50, v39, v28 dst_sel:DWORD dst_unused:UNUSED_PAD src0_sel:DWORD src1_sel:WORD_1
	v_mul_f16_sdwa v52, v16, v29 dst_sel:DWORD dst_unused:UNUSED_PAD src0_sel:DWORD src1_sel:WORD_1
	v_fma_f16 v8, v24, v8, -v41
	v_fma_f16 v24, v24, v34, v42
	v_fma_f16 v10, v25, v10, -v43
	v_fma_f16 v9, v26, v9, -v45
	v_fma_f16 v26, v26, v36, v46
	v_fma_f16 v11, v27, v11, -v47
	v_fma_f16 v27, v27, v37, v48
	v_fma_f16 v34, v39, v28, -v49
	v_fma_f16 v16, v16, v29, -v51
	v_fma_f16 v25, v25, v35, v44
	v_fma_f16 v23, v23, v28, v50
	;; [unrolled: 1-line block ×3, first 2 shown]
	v_add_f16_e32 v28, v8, v6
	v_add_f16_e32 v29, v8, v10
	v_sub_f16_e32 v37, v8, v10
	v_add_f16_e32 v8, v7, v9
	v_add_f16_e32 v39, v9, v11
	v_sub_f16_e32 v41, v26, v27
	v_add_f16_e32 v42, v22, v26
	v_add_f16_e32 v26, v26, v27
	v_add_f16_e32 v44, v34, v16
	v_sub_f16_e32 v35, v24, v25
	v_add_f16_e32 v36, v24, v38
	v_add_f16_e32 v24, v24, v25
	v_sub_f16_e32 v9, v9, v11
	v_add_f16_e32 v43, v20, v34
	v_sub_f16_e32 v45, v23, v17
	v_add_f16_e32 v46, v40, v23
	v_add_f16_e32 v23, v23, v17
	v_fma_f16 v6, v29, -0.5, v6
	v_add_f16_e32 v29, v8, v11
	v_fma_f16 v7, v39, -0.5, v7
	v_fma_f16 v11, v26, -0.5, v22
	;; [unrolled: 1-line block ×3, first 2 shown]
	v_add_f16_e32 v28, v28, v10
	v_add_f16_e32 v25, v36, v25
	v_fma_f16 v24, v24, -0.5, v38
	v_add_f16_e32 v10, v46, v17
	v_fma_f16 v17, v23, -0.5, v40
	v_fma_f16 v22, v35, s4, v6
	v_fma_f16 v23, v35, s5, v6
	v_fma_f16 v35, v41, s4, v7
	v_fma_f16 v6, v41, s5, v7
	v_fma_f16 v36, v9, s5, v11
	v_fma_f16 v7, v9, s4, v11
	v_fma_f16 v9, v45, s4, v20
	v_fma_f16 v11, v45, s5, v20
	v_sub_f16_e32 v20, v34, v16
	v_add_f16_e32 v8, v43, v16
	v_fma_f16 v26, v37, s5, v24
	v_fma_f16 v16, v20, s5, v17
	v_fma_f16 v17, v20, s4, v17
	v_mul_u32_u24_e32 v20, 0x108, v30
	v_fma_f16 v24, v37, s4, v24
	v_add3_u32 v18, 0, v20, v18
	v_pack_b32_f16 v20, v28, v25
	v_pack_b32_f16 v22, v22, v26
	ds_write2_b32 v18, v20, v22 offset1:22
	v_pack_b32_f16 v20, v23, v24
	v_add_f16_e32 v27, v42, v27
	ds_write_b32 v18, v20 offset:176
	v_mul_u32_u24_e32 v18, 0x108, v32
	v_lshlrev_b32_e32 v20, 2, v33
	v_add3_u32 v18, 0, v18, v20
	v_pack_b32_f16 v20, v29, v27
	v_pack_b32_f16 v22, v35, v36
	ds_write2_b32 v18, v20, v22 offset1:22
	v_pack_b32_f16 v20, v6, v7
	ds_write_b32 v18, v20 offset:176
	s_and_saveexec_b64 s[4:5], vcc
	s_cbranch_execz .LBB0_17
; %bb.16:
	v_mul_lo_u16_e32 v18, 0x42, v21
	v_lshlrev_b32_e32 v19, 2, v19
	v_lshlrev_b32_e32 v18, 2, v18
	v_add3_u32 v18, 0, v19, v18
	v_perm_b32 v19, v10, v8, s10
	v_perm_b32 v20, v16, v9, s10
	ds_write2_b32 v18, v19, v20 offset1:22
	v_perm_b32 v19, v17, v11, s10
	ds_write_b32 v18, v19 offset:176
.LBB0_17:
	s_or_b64 exec, exec, s[4:5]
	s_waitcnt lgkmcnt(0)
	s_barrier
	ds_read_b32 v18, v15
	ds_read_b32 v22, v15 offset:1056
	ds_read_b32 v21, v15 offset:2112
	;; [unrolled: 1-line block ×4, first 2 shown]
	s_movk_i32 s4, 0x63
	v_cmp_gt_u32_e32 vcc, s4, v0
	s_and_saveexec_b64 s[4:5], vcc
	s_cbranch_execz .LBB0_19
; %bb.18:
	ds_read_b32 v6, v15 offset:660
	ds_read_b32 v1, v15 offset:4884
	ds_read_b32 v8, v15 offset:1716
	ds_read_b32 v9, v15 offset:2772
	ds_read_b32 v11, v15 offset:3828
	s_waitcnt lgkmcnt(4)
	v_lshrrev_b32_e32 v7, 16, v6
	s_waitcnt lgkmcnt(3)
	v_lshrrev_b32_e32 v12, 16, v1
	;; [unrolled: 2-line block ×5, first 2 shown]
.LBB0_19:
	s_or_b64 exec, exec, s[4:5]
	s_movk_i32 s4, 0xf9
	v_mul_lo_u16_sdwa v23, v0, s4 dst_sel:DWORD dst_unused:UNUSED_PAD src0_sel:BYTE_0 src1_sel:DWORD
	v_lshrrev_b16_e32 v23, 14, v23
	v_mul_lo_u16_e32 v24, 0x42, v23
	v_sub_u16_e32 v28, v0, v24
	v_mov_b32_e32 v24, 4
	v_lshlrev_b32_sdwa v24, v24, v28 dst_sel:DWORD dst_unused:UNUSED_PAD src0_sel:DWORD src1_sel:BYTE_0
	global_load_dwordx4 v[24:27], v24, s[8:9] offset:220
	s_waitcnt lgkmcnt(3)
	v_lshrrev_b32_e32 v30, 16, v22
	s_waitcnt lgkmcnt(2)
	v_lshrrev_b32_e32 v31, 16, v21
	;; [unrolled: 2-line block ×4, first 2 shown]
	v_mov_b32_e32 v34, 2
	v_lshlrev_b32_sdwa v28, v34, v28 dst_sel:DWORD dst_unused:UNUSED_PAD src0_sel:DWORD src1_sel:BYTE_0
	v_lshrrev_b32_e32 v29, 16, v18
	s_movk_i32 s12, 0x3b9c
	s_mov_b32 s14, 0xbb9c
	s_movk_i32 s11, 0x38b4
	s_mov_b32 s13, 0xb8b4
	s_movk_i32 s10, 0x34f2
	v_mul_u32_u24_e32 v23, 0x528, v23
	v_add3_u32 v23, 0, v23, v28
	s_barrier
	s_waitcnt vmcnt(0)
	v_mul_f16_sdwa v34, v24, v30 dst_sel:DWORD dst_unused:UNUSED_PAD src0_sel:WORD_1 src1_sel:DWORD
	v_mul_f16_sdwa v35, v24, v22 dst_sel:DWORD dst_unused:UNUSED_PAD src0_sel:WORD_1 src1_sel:DWORD
	;; [unrolled: 1-line block ×8, first 2 shown]
	v_fma_f16 v22, v24, v22, -v34
	v_fma_f16 v24, v24, v30, v35
	v_fma_f16 v21, v25, v21, -v36
	v_fma_f16 v25, v25, v31, v37
	;; [unrolled: 2-line block ×4, first 2 shown]
	v_add_f16_e32 v30, v18, v22
	v_add_f16_e32 v31, v21, v20
	v_sub_f16_e32 v34, v22, v21
	v_sub_f16_e32 v35, v19, v20
	v_add_f16_e32 v39, v29, v24
	v_add_f16_e32 v40, v25, v26
	v_sub_f16_e32 v32, v24, v27
	v_sub_f16_e32 v33, v25, v26
	v_add_f16_e32 v36, v22, v19
	v_sub_f16_e32 v37, v21, v22
	v_sub_f16_e32 v22, v22, v19
	;; [unrolled: 1-line block ×4, first 2 shown]
	v_add_f16_e32 v44, v24, v27
	v_sub_f16_e32 v24, v25, v24
	v_add_f16_e32 v21, v30, v21
	v_fma_f16 v30, v31, -0.5, v18
	v_add_f16_e32 v31, v34, v35
	v_add_f16_e32 v25, v39, v25
	v_fma_f16 v35, v40, -0.5, v29
	v_sub_f16_e32 v38, v20, v19
	v_sub_f16_e32 v43, v27, v26
	;; [unrolled: 1-line block ×3, first 2 shown]
	v_fma_f16 v18, v36, -0.5, v18
	v_fma_f16 v29, v44, -0.5, v29
	v_add_f16_e32 v20, v21, v20
	v_fma_f16 v21, v32, s12, v30
	v_add_f16_e32 v25, v25, v26
	v_fma_f16 v26, v22, s14, v35
	v_add_f16_e32 v34, v37, v38
	v_add_f16_e32 v36, v42, v43
	v_fma_f16 v30, v32, s14, v30
	v_fma_f16 v37, v33, s14, v18
	;; [unrolled: 1-line block ×5, first 2 shown]
	v_add_f16_e32 v19, v20, v19
	v_fma_f16 v20, v33, s11, v21
	v_fma_f16 v26, v41, s13, v26
	v_add_f16_e32 v24, v24, v45
	v_fma_f16 v35, v22, s12, v35
	v_fma_f16 v21, v33, s13, v30
	;; [unrolled: 1-line block ×4, first 2 shown]
	v_add_f16_e32 v25, v25, v27
	v_fma_f16 v32, v22, s13, v38
	v_fma_f16 v22, v22, s11, v29
	;; [unrolled: 1-line block ×9, first 2 shown]
	v_pack_b32_f16 v19, v19, v25
	v_pack_b32_f16 v20, v20, v26
	v_fma_f16 v21, v31, s10, v21
	v_fma_f16 v27, v36, s10, v27
	ds_write2_b32 v23, v19, v20 offset1:66
	v_pack_b32_f16 v19, v29, v30
	v_pack_b32_f16 v18, v18, v22
	ds_write2_b32 v23, v19, v18 offset0:132 offset1:198
	v_pack_b32_f16 v18, v21, v27
	ds_write_b32 v23, v18 offset:1056
	s_and_saveexec_b64 s[4:5], vcc
	s_cbranch_execz .LBB0_21
; %bb.20:
	s_mov_b32 s15, 0xf83f
	v_mul_u32_u24_sdwa v18, v13, s15 dst_sel:DWORD dst_unused:UNUSED_PAD src0_sel:WORD_0 src1_sel:DWORD
	v_lshrrev_b32_e32 v22, 22, v18
	v_mul_lo_u16_e32 v18, 0x42, v22
	v_sub_u16_e32 v23, v13, v18
	v_lshlrev_b32_e32 v18, 4, v23
	global_load_dwordx4 v[18:21], v18, s[8:9] offset:220
	v_mul_lo_u16_e32 v22, 0x14a, v22
	v_lshlrev_b32_e32 v22, 2, v22
	v_lshlrev_b32_e32 v23, 2, v23
	v_add3_u32 v22, 0, v23, v22
	s_waitcnt vmcnt(0)
	v_mul_f16_sdwa v23, v9, v19 dst_sel:DWORD dst_unused:UNUSED_PAD src0_sel:DWORD src1_sel:WORD_1
	v_mul_f16_sdwa v24, v8, v18 dst_sel:DWORD dst_unused:UNUSED_PAD src0_sel:DWORD src1_sel:WORD_1
	;; [unrolled: 1-line block ×8, first 2 shown]
	v_fma_f16 v16, v16, v19, v23
	v_fma_f16 v10, v10, v18, v24
	;; [unrolled: 1-line block ×4, first 2 shown]
	v_fma_f16 v9, v9, v19, -v27
	v_fma_f16 v11, v11, v20, -v28
	;; [unrolled: 1-line block ×4, first 2 shown]
	v_sub_f16_e32 v18, v16, v10
	v_sub_f16_e32 v19, v17, v12
	v_add_f16_e32 v21, v10, v12
	v_sub_f16_e32 v24, v9, v8
	v_sub_f16_e32 v25, v11, v1
	v_add_f16_e32 v27, v8, v1
	v_add_f16_e32 v31, v16, v17
	;; [unrolled: 1-line block ×3, first 2 shown]
	v_sub_f16_e32 v23, v8, v1
	v_sub_f16_e32 v26, v10, v12
	;; [unrolled: 1-line block ×6, first 2 shown]
	v_add_f16_e32 v10, v7, v10
	v_add_f16_e32 v8, v6, v8
	;; [unrolled: 1-line block ×3, first 2 shown]
	v_fma_f16 v19, v21, -0.5, v7
	v_add_f16_e32 v21, v24, v25
	v_fma_f16 v24, v27, -0.5, v6
	v_fma_f16 v7, v31, -0.5, v7
	;; [unrolled: 1-line block ×3, first 2 shown]
	v_sub_f16_e32 v20, v9, v11
	v_sub_f16_e32 v33, v1, v11
	v_add_f16_e32 v25, v29, v30
	v_add_f16_e32 v10, v10, v16
	;; [unrolled: 1-line block ×3, first 2 shown]
	v_fma_f16 v16, v28, s14, v24
	v_fma_f16 v29, v23, s14, v7
	;; [unrolled: 1-line block ×3, first 2 shown]
	v_add_f16_e32 v27, v32, v33
	v_fma_f16 v9, v20, s12, v19
	v_add_f16_e32 v10, v10, v17
	v_add_f16_e32 v8, v8, v11
	v_fma_f16 v11, v20, s14, v19
	v_fma_f16 v7, v23, s12, v7
	;; [unrolled: 1-line block ×8, first 2 shown]
	v_add_f16_e32 v10, v10, v12
	v_add_f16_e32 v1, v8, v1
	v_fma_f16 v8, v23, s11, v11
	v_fma_f16 v7, v20, s11, v7
	;; [unrolled: 1-line block ×12, first 2 shown]
	v_pack_b32_f16 v1, v1, v10
	v_pack_b32_f16 v10, v17, v16
	;; [unrolled: 1-line block ×5, first 2 shown]
	ds_write2_b32 v22, v1, v10 offset1:66
	ds_write2_b32 v22, v9, v8 offset0:132 offset1:198
	ds_write_b32 v22, v6 offset:1056
.LBB0_21:
	s_or_b64 exec, exec, s[4:5]
	s_waitcnt lgkmcnt(0)
	s_barrier
	s_and_saveexec_b64 s[4:5], s[0:1]
	s_cbranch_execz .LBB0_23
; %bb.22:
	v_mul_u32_u24_e32 v1, 3, v13
	v_lshlrev_b32_e32 v1, 2, v1
	global_load_dwordx3 v[6:8], v1, s[8:9] offset:1276
	v_mul_u32_u24_e32 v1, 3, v0
	v_lshlrev_b32_e32 v1, 2, v1
	global_load_dwordx3 v[10:12], v1, s[8:9] offset:1276
	v_mul_lo_u32 v9, s3, v4
	v_mul_lo_u32 v18, s2, v5
	v_mad_u64_u32 v[4:5], s[0:1], s2, v4, 0
	v_add_u32_e32 v19, 0xc00, v15
	ds_read2_b32 v[16:17], v15 offset1:165
	v_add_u32_e32 v20, 0x700, v15
	ds_read_b32 v21, v15 offset:4620
	ds_read_b32 v22, v14
	v_add3_u32 v5, v5, v18, v9
	ds_read2_b32 v[14:15], v19 offset0:57 offset1:222
	ds_read2_b32 v[18:19], v20 offset0:47 offset1:212
	v_lshl_add_u64 v[4:5], v[4:5], 2, s[6:7]
	v_mov_b32_e32 v1, 0
	v_lshl_add_u64 v[2:3], v[2:3], 2, v[4:5]
	v_lshl_add_u64 v[2:3], v[0:1], 2, v[2:3]
	s_waitcnt lgkmcnt(4)
	v_lshrrev_b32_e32 v0, 16, v17
	v_lshrrev_b32_e32 v4, 16, v16
	s_mov_b32 s0, 0x634c0635
	s_waitcnt vmcnt(1)
	v_lshrrev_b32_e32 v5, 16, v6
	v_lshrrev_b32_e32 v9, 16, v7
	;; [unrolled: 1-line block ×3, first 2 shown]
	s_waitcnt lgkmcnt(0)
	v_mul_f16_sdwa v23, v6, v18 dst_sel:DWORD dst_unused:UNUSED_PAD src0_sel:DWORD src1_sel:WORD_1
	v_mul_f16_sdwa v24, v8, v21 dst_sel:DWORD dst_unused:UNUSED_PAD src0_sel:DWORD src1_sel:WORD_1
	;; [unrolled: 1-line block ×3, first 2 shown]
	s_waitcnt vmcnt(0)
	v_lshrrev_b32_e32 v26, 16, v10
	v_lshrrev_b32_e32 v27, 16, v11
	;; [unrolled: 1-line block ×3, first 2 shown]
	v_mul_f16_sdwa v29, v10, v22 dst_sel:DWORD dst_unused:UNUSED_PAD src0_sel:DWORD src1_sel:WORD_1
	v_mul_f16_sdwa v30, v12, v15 dst_sel:DWORD dst_unused:UNUSED_PAD src0_sel:DWORD src1_sel:WORD_1
	;; [unrolled: 1-line block ×4, first 2 shown]
	v_fma_f16 v23, v5, v18, v23
	v_fma_f16 v24, v20, v21, v24
	;; [unrolled: 1-line block ×3, first 2 shown]
	v_mul_f16_sdwa v5, v5, v18 dst_sel:DWORD dst_unused:UNUSED_PAD src0_sel:DWORD src1_sel:WORD_1
	v_mul_f16_sdwa v20, v20, v21 dst_sel:DWORD dst_unused:UNUSED_PAD src0_sel:DWORD src1_sel:WORD_1
	;; [unrolled: 1-line block ×3, first 2 shown]
	v_fma_f16 v29, v26, v22, v29
	v_fma_f16 v30, v28, v15, v30
	v_mul_f16_sdwa v26, v26, v22 dst_sel:DWORD dst_unused:UNUSED_PAD src0_sel:DWORD src1_sel:WORD_1
	v_mul_f16_sdwa v28, v28, v15 dst_sel:DWORD dst_unused:UNUSED_PAD src0_sel:DWORD src1_sel:WORD_1
	v_fma_f16 v27, v27, v19, v31
	v_fma_f16 v7, v7, v14, -v32
	v_sub_f16_e32 v14, v23, v24
	v_sub_f16_e32 v9, v0, v9
	v_fma_f16 v5, v6, v18, -v5
	v_fma_f16 v6, v8, v21, -v20
	;; [unrolled: 1-line block ×5, first 2 shown]
	v_sub_f16_e32 v11, v29, v30
	v_sub_f16_e32 v18, v4, v27
	;; [unrolled: 1-line block ×3, first 2 shown]
	v_fma_f16 v0, v0, 2.0, -v9
	v_fma_f16 v15, v23, 2.0, -v14
	v_sub_f16_e32 v8, v16, v8
	v_sub_f16_e32 v12, v10, v12
	v_fma_f16 v4, v4, 2.0, -v18
	v_fma_f16 v19, v29, 2.0, -v11
	v_add_f16_e32 v20, v9, v6
	v_fma_f16 v5, v5, 2.0, -v6
	v_sub_f16_e32 v6, v0, v15
	v_sub_f16_e32 v11, v8, v11
	v_add_f16_e32 v15, v18, v12
	v_fma_f16 v16, v16, 2.0, -v8
	v_fma_f16 v10, v10, 2.0, -v12
	v_sub_f16_e32 v12, v4, v19
	v_fma_f16 v19, v0, 2.0, -v6
	v_fma_f16 v0, v8, 2.0, -v11
	v_fma_f16 v8, v18, 2.0, -v15
	v_sub_f16_e32 v10, v16, v10
	v_fma_f16 v4, v4, 2.0, -v12
	v_fma_f16 v16, v16, 2.0, -v10
	v_pack_b32_f16 v0, v0, v8
	v_sub_f16_e32 v7, v17, v7
	v_pack_b32_f16 v8, v10, v12
	v_pack_b32_f16 v4, v16, v4
	global_store_dword v[2:3], v0, off offset:1320
	global_store_dword v[2:3], v4, off
	global_store_dword v[2:3], v8, off offset:2640
	v_pack_b32_f16 v0, v11, v15
	v_fma_f16 v17, v17, 2.0, -v7
	global_store_dword v[2:3], v0, off offset:3960
	v_mul_hi_u32 v0, v13, s0
	v_sub_f16_e32 v5, v17, v5
	v_lshrrev_b32_e32 v0, 7, v0
	v_sub_f16_e32 v14, v7, v14
	v_fma_f16 v17, v17, 2.0, -v5
	v_mul_u32_u24_e32 v0, 0x3de, v0
	v_fma_f16 v7, v7, 2.0, -v14
	v_fma_f16 v9, v9, 2.0, -v20
	v_lshl_add_u64 v[0:1], v[0:1], 2, v[2:3]
	v_pack_b32_f16 v4, v17, v19
	global_store_dword v[0:1], v4, off offset:660
	v_pack_b32_f16 v4, v7, v9
	s_mov_b64 s[0:1], 0x294
	global_store_dword v[0:1], v4, off offset:1980
	v_pack_b32_f16 v4, v5, v6
	v_lshl_add_u64 v[2:3], v[0:1], 0, s[0:1]
	global_store_dword v[0:1], v4, off offset:3300
	v_pack_b32_f16 v0, v14, v20
	global_store_dword v[2:3], v0, off offset:3960
.LBB0_23:
	s_endpgm
	.section	.rodata,"a",@progbits
	.p2align	6, 0x0
	.amdhsa_kernel fft_rtc_fwd_len1320_factors_11_2_3_5_4_wgs_165_tpt_165_half_op_CI_CI_unitstride_sbrr_dirReg
		.amdhsa_group_segment_fixed_size 0
		.amdhsa_private_segment_fixed_size 0
		.amdhsa_kernarg_size 104
		.amdhsa_user_sgpr_count 2
		.amdhsa_user_sgpr_dispatch_ptr 0
		.amdhsa_user_sgpr_queue_ptr 0
		.amdhsa_user_sgpr_kernarg_segment_ptr 1
		.amdhsa_user_sgpr_dispatch_id 0
		.amdhsa_user_sgpr_kernarg_preload_length 0
		.amdhsa_user_sgpr_kernarg_preload_offset 0
		.amdhsa_user_sgpr_private_segment_size 0
		.amdhsa_uses_dynamic_stack 0
		.amdhsa_enable_private_segment 0
		.amdhsa_system_sgpr_workgroup_id_x 1
		.amdhsa_system_sgpr_workgroup_id_y 0
		.amdhsa_system_sgpr_workgroup_id_z 0
		.amdhsa_system_sgpr_workgroup_info 0
		.amdhsa_system_vgpr_workitem_id 0
		.amdhsa_next_free_vgpr 96
		.amdhsa_next_free_sgpr 28
		.amdhsa_accum_offset 96
		.amdhsa_reserve_vcc 1
		.amdhsa_float_round_mode_32 0
		.amdhsa_float_round_mode_16_64 0
		.amdhsa_float_denorm_mode_32 3
		.amdhsa_float_denorm_mode_16_64 3
		.amdhsa_dx10_clamp 1
		.amdhsa_ieee_mode 1
		.amdhsa_fp16_overflow 0
		.amdhsa_tg_split 0
		.amdhsa_exception_fp_ieee_invalid_op 0
		.amdhsa_exception_fp_denorm_src 0
		.amdhsa_exception_fp_ieee_div_zero 0
		.amdhsa_exception_fp_ieee_overflow 0
		.amdhsa_exception_fp_ieee_underflow 0
		.amdhsa_exception_fp_ieee_inexact 0
		.amdhsa_exception_int_div_zero 0
	.end_amdhsa_kernel
	.text
.Lfunc_end0:
	.size	fft_rtc_fwd_len1320_factors_11_2_3_5_4_wgs_165_tpt_165_half_op_CI_CI_unitstride_sbrr_dirReg, .Lfunc_end0-fft_rtc_fwd_len1320_factors_11_2_3_5_4_wgs_165_tpt_165_half_op_CI_CI_unitstride_sbrr_dirReg
                                        ; -- End function
	.section	.AMDGPU.csdata,"",@progbits
; Kernel info:
; codeLenInByte = 7388
; NumSgprs: 34
; NumVgprs: 96
; NumAgprs: 0
; TotalNumVgprs: 96
; ScratchSize: 0
; MemoryBound: 0
; FloatMode: 240
; IeeeMode: 1
; LDSByteSize: 0 bytes/workgroup (compile time only)
; SGPRBlocks: 4
; VGPRBlocks: 11
; NumSGPRsForWavesPerEU: 34
; NumVGPRsForWavesPerEU: 96
; AccumOffset: 96
; Occupancy: 5
; WaveLimiterHint : 1
; COMPUTE_PGM_RSRC2:SCRATCH_EN: 0
; COMPUTE_PGM_RSRC2:USER_SGPR: 2
; COMPUTE_PGM_RSRC2:TRAP_HANDLER: 0
; COMPUTE_PGM_RSRC2:TGID_X_EN: 1
; COMPUTE_PGM_RSRC2:TGID_Y_EN: 0
; COMPUTE_PGM_RSRC2:TGID_Z_EN: 0
; COMPUTE_PGM_RSRC2:TIDIG_COMP_CNT: 0
; COMPUTE_PGM_RSRC3_GFX90A:ACCUM_OFFSET: 23
; COMPUTE_PGM_RSRC3_GFX90A:TG_SPLIT: 0
	.text
	.p2alignl 6, 3212836864
	.fill 256, 4, 3212836864
	.type	__hip_cuid_f2bd02ad94318ee2,@object ; @__hip_cuid_f2bd02ad94318ee2
	.section	.bss,"aw",@nobits
	.globl	__hip_cuid_f2bd02ad94318ee2
__hip_cuid_f2bd02ad94318ee2:
	.byte	0                               ; 0x0
	.size	__hip_cuid_f2bd02ad94318ee2, 1

	.ident	"AMD clang version 19.0.0git (https://github.com/RadeonOpenCompute/llvm-project roc-6.4.0 25133 c7fe45cf4b819c5991fe208aaa96edf142730f1d)"
	.section	".note.GNU-stack","",@progbits
	.addrsig
	.addrsig_sym __hip_cuid_f2bd02ad94318ee2
	.amdgpu_metadata
---
amdhsa.kernels:
  - .agpr_count:     0
    .args:
      - .actual_access:  read_only
        .address_space:  global
        .offset:         0
        .size:           8
        .value_kind:     global_buffer
      - .offset:         8
        .size:           8
        .value_kind:     by_value
      - .actual_access:  read_only
        .address_space:  global
        .offset:         16
        .size:           8
        .value_kind:     global_buffer
      - .actual_access:  read_only
        .address_space:  global
        .offset:         24
        .size:           8
        .value_kind:     global_buffer
      - .actual_access:  read_only
        .address_space:  global
        .offset:         32
        .size:           8
        .value_kind:     global_buffer
      - .offset:         40
        .size:           8
        .value_kind:     by_value
      - .actual_access:  read_only
        .address_space:  global
        .offset:         48
        .size:           8
        .value_kind:     global_buffer
      - .actual_access:  read_only
        .address_space:  global
        .offset:         56
        .size:           8
        .value_kind:     global_buffer
      - .offset:         64
        .size:           4
        .value_kind:     by_value
      - .actual_access:  read_only
        .address_space:  global
        .offset:         72
        .size:           8
        .value_kind:     global_buffer
      - .actual_access:  read_only
        .address_space:  global
        .offset:         80
        .size:           8
        .value_kind:     global_buffer
      - .actual_access:  read_only
        .address_space:  global
        .offset:         88
        .size:           8
        .value_kind:     global_buffer
      - .actual_access:  write_only
        .address_space:  global
        .offset:         96
        .size:           8
        .value_kind:     global_buffer
    .group_segment_fixed_size: 0
    .kernarg_segment_align: 8
    .kernarg_segment_size: 104
    .language:       OpenCL C
    .language_version:
      - 2
      - 0
    .max_flat_workgroup_size: 165
    .name:           fft_rtc_fwd_len1320_factors_11_2_3_5_4_wgs_165_tpt_165_half_op_CI_CI_unitstride_sbrr_dirReg
    .private_segment_fixed_size: 0
    .sgpr_count:     34
    .sgpr_spill_count: 0
    .symbol:         fft_rtc_fwd_len1320_factors_11_2_3_5_4_wgs_165_tpt_165_half_op_CI_CI_unitstride_sbrr_dirReg.kd
    .uniform_work_group_size: 1
    .uses_dynamic_stack: false
    .vgpr_count:     96
    .vgpr_spill_count: 0
    .wavefront_size: 64
amdhsa.target:   amdgcn-amd-amdhsa--gfx950
amdhsa.version:
  - 1
  - 2
...

	.end_amdgpu_metadata
